;; amdgpu-corpus repo=ROCm/rocFFT kind=compiled arch=gfx950 opt=O3
	.text
	.amdgcn_target "amdgcn-amd-amdhsa--gfx950"
	.amdhsa_code_object_version 6
	.protected	fft_rtc_fwd_len1232_factors_2_2_2_2_11_7_wgs_176_tpt_176_halfLds_dp_op_CI_CI_sbrr_dirReg ; -- Begin function fft_rtc_fwd_len1232_factors_2_2_2_2_11_7_wgs_176_tpt_176_halfLds_dp_op_CI_CI_sbrr_dirReg
	.globl	fft_rtc_fwd_len1232_factors_2_2_2_2_11_7_wgs_176_tpt_176_halfLds_dp_op_CI_CI_sbrr_dirReg
	.p2align	8
	.type	fft_rtc_fwd_len1232_factors_2_2_2_2_11_7_wgs_176_tpt_176_halfLds_dp_op_CI_CI_sbrr_dirReg,@function
fft_rtc_fwd_len1232_factors_2_2_2_2_11_7_wgs_176_tpt_176_halfLds_dp_op_CI_CI_sbrr_dirReg: ; @fft_rtc_fwd_len1232_factors_2_2_2_2_11_7_wgs_176_tpt_176_halfLds_dp_op_CI_CI_sbrr_dirReg
; %bb.0:
	s_load_dwordx4 s[12:15], s[0:1], 0x18
	s_load_dwordx4 s[8:11], s[0:1], 0x0
	;; [unrolled: 1-line block ×3, first 2 shown]
	v_mul_u32_u24_e32 v1, 0x175, v0
	v_add_u32_sdwa v6, s2, v1 dst_sel:DWORD dst_unused:UNUSED_PAD src0_sel:DWORD src1_sel:WORD_1
	s_waitcnt lgkmcnt(0)
	s_load_dwordx2 s[18:19], s[12:13], 0x0
	s_load_dwordx2 s[16:17], s[14:15], 0x0
	v_mov_b32_e32 v2, 0
	v_cmp_lt_u64_e64 s[2:3], s[10:11], 2
	v_mov_b32_e32 v7, v2
	s_and_b64 vcc, exec, s[2:3]
	v_mov_b64_e32 v[4:5], 0
	s_cbranch_vccnz .LBB0_8
; %bb.1:
	s_load_dwordx2 s[2:3], s[0:1], 0x10
	s_add_u32 s20, s14, 8
	s_addc_u32 s21, s15, 0
	s_add_u32 s22, s12, 8
	s_addc_u32 s23, s13, 0
	s_waitcnt lgkmcnt(0)
	s_add_u32 s24, s2, 8
	v_mov_b64_e32 v[4:5], 0
	s_addc_u32 s25, s3, 0
	s_mov_b64 s[26:27], 1
	v_mov_b64_e32 v[40:41], v[4:5]
.LBB0_2:                                ; =>This Inner Loop Header: Depth=1
	s_load_dwordx2 s[28:29], s[24:25], 0x0
                                        ; implicit-def: $vgpr42_vgpr43
	s_waitcnt lgkmcnt(0)
	v_or_b32_e32 v3, s29, v7
	v_cmp_ne_u64_e32 vcc, 0, v[2:3]
	s_and_saveexec_b64 s[2:3], vcc
	s_xor_b64 s[30:31], exec, s[2:3]
	s_cbranch_execz .LBB0_4
; %bb.3:                                ;   in Loop: Header=BB0_2 Depth=1
	v_cvt_f32_u32_e32 v1, s28
	v_cvt_f32_u32_e32 v3, s29
	s_sub_u32 s2, 0, s28
	s_subb_u32 s3, 0, s29
	v_fmac_f32_e32 v1, 0x4f800000, v3
	v_rcp_f32_e32 v1, v1
	s_nop 0
	v_mul_f32_e32 v1, 0x5f7ffffc, v1
	v_mul_f32_e32 v3, 0x2f800000, v1
	v_trunc_f32_e32 v3, v3
	v_fmac_f32_e32 v1, 0xcf800000, v3
	v_cvt_u32_f32_e32 v3, v3
	v_cvt_u32_f32_e32 v1, v1
	v_mul_lo_u32 v8, s2, v3
	v_mul_hi_u32 v10, s2, v1
	v_mul_lo_u32 v9, s3, v1
	v_add_u32_e32 v10, v10, v8
	v_mul_lo_u32 v12, s2, v1
	v_add_u32_e32 v13, v10, v9
	v_mul_hi_u32 v8, v1, v12
	v_mul_hi_u32 v11, v1, v13
	v_mul_lo_u32 v10, v1, v13
	v_mov_b32_e32 v9, v2
	v_lshl_add_u64 v[8:9], v[8:9], 0, v[10:11]
	v_mul_hi_u32 v11, v3, v12
	v_mul_lo_u32 v12, v3, v12
	v_add_co_u32_e32 v8, vcc, v8, v12
	v_mul_hi_u32 v10, v3, v13
	s_nop 0
	v_addc_co_u32_e32 v8, vcc, v9, v11, vcc
	v_mov_b32_e32 v9, v2
	s_nop 0
	v_addc_co_u32_e32 v11, vcc, 0, v10, vcc
	v_mul_lo_u32 v10, v3, v13
	v_lshl_add_u64 v[8:9], v[8:9], 0, v[10:11]
	v_add_co_u32_e32 v1, vcc, v1, v8
	v_mul_lo_u32 v10, s2, v1
	s_nop 0
	v_addc_co_u32_e32 v3, vcc, v3, v9, vcc
	v_mul_lo_u32 v8, s2, v3
	v_mul_hi_u32 v9, s2, v1
	v_add_u32_e32 v8, v9, v8
	v_mul_lo_u32 v9, s3, v1
	v_add_u32_e32 v12, v8, v9
	v_mul_hi_u32 v14, v3, v10
	v_mul_lo_u32 v15, v3, v10
	v_mul_hi_u32 v9, v1, v12
	v_mul_lo_u32 v8, v1, v12
	v_mul_hi_u32 v10, v1, v10
	v_mov_b32_e32 v11, v2
	v_lshl_add_u64 v[8:9], v[10:11], 0, v[8:9]
	v_add_co_u32_e32 v8, vcc, v8, v15
	v_mul_hi_u32 v13, v3, v12
	s_nop 0
	v_addc_co_u32_e32 v8, vcc, v9, v14, vcc
	v_mul_lo_u32 v10, v3, v12
	s_nop 0
	v_addc_co_u32_e32 v11, vcc, 0, v13, vcc
	v_mov_b32_e32 v9, v2
	v_lshl_add_u64 v[8:9], v[8:9], 0, v[10:11]
	v_add_co_u32_e32 v1, vcc, v1, v8
	v_mul_hi_u32 v10, v6, v1
	s_nop 0
	v_addc_co_u32_e32 v3, vcc, v3, v9, vcc
	v_mad_u64_u32 v[8:9], s[2:3], v6, v3, 0
	v_mov_b32_e32 v11, v2
	v_lshl_add_u64 v[8:9], v[10:11], 0, v[8:9]
	v_mad_u64_u32 v[12:13], s[2:3], v7, v1, 0
	v_add_co_u32_e32 v1, vcc, v8, v12
	v_mad_u64_u32 v[10:11], s[2:3], v7, v3, 0
	s_nop 0
	v_addc_co_u32_e32 v8, vcc, v9, v13, vcc
	v_mov_b32_e32 v9, v2
	s_nop 0
	v_addc_co_u32_e32 v11, vcc, 0, v11, vcc
	v_lshl_add_u64 v[8:9], v[8:9], 0, v[10:11]
	v_mul_lo_u32 v1, s29, v8
	v_mul_lo_u32 v3, s28, v9
	v_mad_u64_u32 v[10:11], s[2:3], s28, v8, 0
	v_add3_u32 v1, v11, v3, v1
	v_sub_u32_e32 v3, v7, v1
	v_mov_b32_e32 v11, s29
	v_sub_co_u32_e32 v14, vcc, v6, v10
	v_lshl_add_u64 v[12:13], v[8:9], 0, 1
	s_nop 0
	v_subb_co_u32_e64 v3, s[2:3], v3, v11, vcc
	v_subrev_co_u32_e64 v10, s[2:3], s28, v14
	v_subb_co_u32_e32 v1, vcc, v7, v1, vcc
	s_nop 0
	v_subbrev_co_u32_e64 v3, s[2:3], 0, v3, s[2:3]
	v_cmp_le_u32_e64 s[2:3], s29, v3
	v_cmp_le_u32_e32 vcc, s29, v1
	s_nop 0
	v_cndmask_b32_e64 v11, 0, -1, s[2:3]
	v_cmp_le_u32_e64 s[2:3], s28, v10
	s_nop 1
	v_cndmask_b32_e64 v10, 0, -1, s[2:3]
	v_cmp_eq_u32_e64 s[2:3], s29, v3
	s_nop 1
	v_cndmask_b32_e64 v3, v11, v10, s[2:3]
	v_lshl_add_u64 v[10:11], v[8:9], 0, 2
	v_cmp_ne_u32_e64 s[2:3], 0, v3
	s_nop 1
	v_cndmask_b32_e64 v3, v13, v11, s[2:3]
	v_cndmask_b32_e64 v11, 0, -1, vcc
	v_cmp_le_u32_e32 vcc, s28, v14
	s_nop 1
	v_cndmask_b32_e64 v13, 0, -1, vcc
	v_cmp_eq_u32_e32 vcc, s29, v1
	s_nop 1
	v_cndmask_b32_e32 v1, v11, v13, vcc
	v_cmp_ne_u32_e32 vcc, 0, v1
	v_cndmask_b32_e64 v1, v12, v10, s[2:3]
	s_nop 0
	v_cndmask_b32_e32 v43, v9, v3, vcc
	v_cndmask_b32_e32 v42, v8, v1, vcc
.LBB0_4:                                ;   in Loop: Header=BB0_2 Depth=1
	s_andn2_saveexec_b64 s[2:3], s[30:31]
	s_cbranch_execz .LBB0_6
; %bb.5:                                ;   in Loop: Header=BB0_2 Depth=1
	v_cvt_f32_u32_e32 v1, s28
	s_sub_i32 s30, 0, s28
	v_mov_b32_e32 v43, v2
	v_rcp_iflag_f32_e32 v1, v1
	s_nop 0
	v_mul_f32_e32 v1, 0x4f7ffffe, v1
	v_cvt_u32_f32_e32 v1, v1
	v_mul_lo_u32 v3, s30, v1
	v_mul_hi_u32 v3, v1, v3
	v_add_u32_e32 v1, v1, v3
	v_mul_hi_u32 v1, v6, v1
	v_mul_lo_u32 v3, v1, s28
	v_sub_u32_e32 v3, v6, v3
	v_add_u32_e32 v8, 1, v1
	v_subrev_u32_e32 v9, s28, v3
	v_cmp_le_u32_e32 vcc, s28, v3
	s_nop 1
	v_cndmask_b32_e32 v3, v3, v9, vcc
	v_cndmask_b32_e32 v1, v1, v8, vcc
	v_add_u32_e32 v8, 1, v1
	v_cmp_le_u32_e32 vcc, s28, v3
	s_nop 1
	v_cndmask_b32_e32 v42, v1, v8, vcc
.LBB0_6:                                ;   in Loop: Header=BB0_2 Depth=1
	s_or_b64 exec, exec, s[2:3]
	v_mad_u64_u32 v[8:9], s[2:3], v42, s28, 0
	s_load_dwordx2 s[2:3], s[22:23], 0x0
	v_mul_lo_u32 v1, v43, s28
	v_mul_lo_u32 v3, v42, s29
	s_load_dwordx2 s[28:29], s[20:21], 0x0
	s_add_u32 s26, s26, 1
	v_add3_u32 v1, v9, v3, v1
	v_sub_co_u32_e32 v3, vcc, v6, v8
	s_addc_u32 s27, s27, 0
	s_nop 0
	v_subb_co_u32_e32 v1, vcc, v7, v1, vcc
	s_add_u32 s20, s20, 8
	s_waitcnt lgkmcnt(0)
	v_mul_lo_u32 v6, s2, v1
	v_mul_lo_u32 v7, s3, v3
	v_mad_u64_u32 v[4:5], s[2:3], s2, v3, v[4:5]
	s_addc_u32 s21, s21, 0
	v_add3_u32 v5, v7, v5, v6
	v_mul_lo_u32 v1, s28, v1
	v_mul_lo_u32 v6, s29, v3
	v_mad_u64_u32 v[40:41], s[2:3], s28, v3, v[40:41]
	s_add_u32 s22, s22, 8
	v_add3_u32 v41, v6, v41, v1
	s_addc_u32 s23, s23, 0
	v_mov_b64_e32 v[6:7], s[10:11]
	s_add_u32 s24, s24, 8
	v_cmp_ge_u64_e32 vcc, s[26:27], v[6:7]
	s_addc_u32 s25, s25, 0
	s_cbranch_vccnz .LBB0_9
; %bb.7:                                ;   in Loop: Header=BB0_2 Depth=1
	v_mov_b64_e32 v[6:7], v[42:43]
	s_branch .LBB0_2
.LBB0_8:
	v_mov_b64_e32 v[40:41], v[4:5]
	v_mov_b64_e32 v[42:43], v[6:7]
.LBB0_9:
	s_load_dwordx2 s[0:1], s[0:1], 0x28
	s_lshl_b64 s[20:21], s[10:11], 3
	s_add_u32 s10, s14, s20
	s_addc_u32 s11, s15, s21
                                        ; implicit-def: $sgpr14
                                        ; implicit-def: $vgpr73
                                        ; implicit-def: $vgpr44
                                        ; implicit-def: $vgpr45
	s_waitcnt lgkmcnt(0)
	v_cmp_gt_u64_e32 vcc, s[0:1], v[42:43]
	v_cmp_le_u64_e64 s[0:1], s[0:1], v[42:43]
	s_and_saveexec_b64 s[2:3], s[0:1]
	s_xor_b64 s[0:1], exec, s[2:3]
; %bb.10:
	s_mov_b32 s2, 0x1745d18
	v_mul_hi_u32 v1, v0, s2
	v_mul_u32_u24_e32 v1, 0xb0, v1
	v_sub_u32_e32 v73, v0, v1
	v_add_u32_e32 v44, 0xb0, v73
	v_add_u32_e32 v45, 0x160, v73
	s_mov_b32 s14, 0
                                        ; implicit-def: $vgpr0
                                        ; implicit-def: $vgpr4_vgpr5
; %bb.11:
	s_or_saveexec_b64 s[2:3], s[0:1]
	s_load_dwordx2 s[10:11], s[10:11], 0x0
	v_mov_b32_e32 v72, s14
                                        ; implicit-def: $vgpr34_vgpr35
                                        ; implicit-def: $vgpr30_vgpr31
                                        ; implicit-def: $vgpr24_vgpr25
                                        ; implicit-def: $vgpr20_vgpr21
                                        ; implicit-def: $vgpr16_vgpr17
                                        ; implicit-def: $vgpr12_vgpr13
                                        ; implicit-def: $vgpr6_vgpr7
                                        ; implicit-def: $vgpr2_vgpr3
	s_xor_b64 exec, exec, s[2:3]
	s_cbranch_execz .LBB0_15
; %bb.12:
	s_add_u32 s0, s12, s20
	s_addc_u32 s1, s13, s21
	s_load_dwordx2 s[0:1], s[0:1], 0x0
	s_mov_b32 s12, 0x1745d18
                                        ; implicit-def: $vgpr32_vgpr33
	s_waitcnt lgkmcnt(0)
	v_mul_lo_u32 v1, s1, v42
	v_mul_lo_u32 v6, s0, v43
	v_mad_u64_u32 v[2:3], s[0:1], s0, v42, 0
	v_add3_u32 v3, v3, v6, v1
	v_mul_hi_u32 v1, v0, s12
	v_mul_u32_u24_e32 v1, 0xb0, v1
	v_sub_u32_e32 v73, v0, v1
	v_mad_u64_u32 v[0:1], s[0:1], s18, v73, 0
	v_mov_b32_e32 v6, v1
	v_mad_u64_u32 v[6:7], s[0:1], s19, v73, v[6:7]
	v_lshl_add_u64 v[2:3], v[2:3], 4, s[4:5]
	v_mov_b32_e32 v1, v6
	v_lshl_add_u64 v[8:9], v[4:5], 4, v[2:3]
	v_add_u32_e32 v3, 0x268, v73
	v_lshl_add_u64 v[10:11], v[0:1], 4, v[8:9]
	v_mad_u64_u32 v[0:1], s[0:1], s18, v3, 0
	v_mov_b32_e32 v2, v1
	v_mad_u64_u32 v[2:3], s[0:1], s19, v3, v[2:3]
	v_mov_b32_e32 v1, v2
	v_add_u32_e32 v44, 0xb0, v73
	v_lshl_add_u64 v[12:13], v[0:1], 4, v[8:9]
	global_load_dwordx4 v[0:3], v[10:11], off
	global_load_dwordx4 v[4:7], v[12:13], off
	v_mad_u64_u32 v[10:11], s[0:1], s18, v44, 0
	v_mov_b32_e32 v12, v11
	v_mad_u64_u32 v[12:13], s[0:1], s19, v44, v[12:13]
	v_mov_b32_e32 v11, v12
	v_add_u32_e32 v13, 0x318, v73
	v_lshl_add_u64 v[18:19], v[10:11], 4, v[8:9]
	v_mad_u64_u32 v[10:11], s[0:1], s18, v13, 0
	v_mov_b32_e32 v12, v11
	v_mad_u64_u32 v[12:13], s[0:1], s19, v13, v[12:13]
	v_mov_b32_e32 v11, v12
	v_add_u32_e32 v45, 0x160, v73
	v_lshl_add_u64 v[20:21], v[10:11], 4, v[8:9]
	global_load_dwordx4 v[10:13], v[18:19], off
	global_load_dwordx4 v[14:17], v[20:21], off
	v_mad_u64_u32 v[18:19], s[0:1], s18, v45, 0
	v_mov_b32_e32 v20, v19
	v_mad_u64_u32 v[20:21], s[0:1], s19, v45, v[20:21]
	v_mov_b32_e32 v19, v20
	v_add_u32_e32 v21, 0x3c8, v73
	v_lshl_add_u64 v[26:27], v[18:19], 4, v[8:9]
	v_mad_u64_u32 v[18:19], s[0:1], s18, v21, 0
	v_mov_b32_e32 v20, v19
	v_mad_u64_u32 v[20:21], s[0:1], s19, v21, v[20:21]
	v_mov_b32_e32 v19, v20
	v_lshl_add_u64 v[28:29], v[18:19], 4, v[8:9]
	global_load_dwordx4 v[18:21], v[26:27], off
	global_load_dwordx4 v[22:25], v[28:29], off
	s_movk_i32 s0, 0x58
	v_cmp_gt_u32_e64 s[0:1], s0, v73
                                        ; implicit-def: $vgpr28_vgpr29
	s_and_saveexec_b64 s[4:5], s[0:1]
	s_cbranch_execz .LBB0_14
; %bb.13:
	v_add_u32_e32 v29, 0x210, v73
	v_mad_u64_u32 v[26:27], s[0:1], s18, v29, 0
	v_mov_b32_e32 v28, v27
	v_mad_u64_u32 v[28:29], s[0:1], s19, v29, v[28:29]
	v_add_u32_e32 v31, 0x478, v73
	v_mov_b32_e32 v27, v28
	v_mad_u64_u32 v[28:29], s[0:1], s18, v31, 0
	v_mov_b32_e32 v30, v29
	v_mad_u64_u32 v[30:31], s[0:1], s19, v31, v[30:31]
	v_lshl_add_u64 v[26:27], v[26:27], 4, v[8:9]
	v_mov_b32_e32 v29, v30
	v_lshl_add_u64 v[8:9], v[28:29], 4, v[8:9]
	global_load_dwordx4 v[28:31], v[26:27], off
	global_load_dwordx4 v[32:35], v[8:9], off
.LBB0_14:
	s_or_b64 exec, exec, s[4:5]
	v_mov_b32_e32 v72, v73
.LBB0_15:
	s_or_b64 exec, exec, s[2:3]
	s_waitcnt vmcnt(4)
	v_add_f64 v[38:39], v[0:1], -v[4:5]
	s_waitcnt vmcnt(2)
	v_add_f64 v[48:49], v[10:11], -v[14:15]
	s_waitcnt vmcnt(0)
	v_add_f64 v[52:53], v[18:19], -v[22:23]
	v_fma_f64 v[36:37], v[0:1], 2.0, -v[38:39]
	v_fma_f64 v[46:47], v[10:11], 2.0, -v[48:49]
	;; [unrolled: 1-line block ×3, first 2 shown]
	v_lshl_add_u32 v15, v73, 4, 0
	v_lshl_add_u32 v18, v44, 4, 0
	v_add_f64 v[10:11], v[28:29], -v[32:33]
	ds_write_b128 v15, v[36:39]
	ds_write_b128 v18, v[46:49]
	v_add_u32_e32 v46, 0x210, v73
	s_movk_i32 s0, 0x58
	v_fma_f64 v[8:9], v[28:29], 2.0, -v[10:11]
	v_lshl_add_u32 v19, v45, 4, 0
	v_cmp_gt_u32_e64 s[0:1], s0, v73
	v_lshl_add_u32 v14, v46, 4, 0
	ds_write_b128 v19, v[50:53]
	s_and_saveexec_b64 s[2:3], s[0:1]
	s_cbranch_execz .LBB0_17
; %bb.16:
	ds_write_b128 v14, v[8:11]
.LBB0_17:
	s_or_b64 exec, exec, s[2:3]
	v_lshlrev_b32_e32 v38, 3, v73
	v_sub_u32_e32 v22, v15, v38
	v_add_u32_e32 v0, 0x1200, v22
	s_waitcnt lgkmcnt(0)
	s_barrier
	ds_read2_b64 v[26:29], v0 offset0:40 offset1:216
	v_lshlrev_b32_e32 v0, 3, v44
	v_lshlrev_b32_e32 v1, 3, v45
	v_sub_u32_e32 v23, v18, v0
	v_sub_u32_e32 v32, v19, v1
	ds_read_b64 v[4:5], v22
	ds_read_b64 v[32:33], v32
	;; [unrolled: 1-line block ×3, first 2 shown]
	ds_read_b64 v[22:23], v22 offset:7744
	v_sub_u32_e32 v38, 0, v38
	v_add_u32_e32 v74, v15, v38
	s_and_saveexec_b64 s[2:3], s[0:1]
	s_cbranch_execz .LBB0_19
; %bb.18:
	ds_read_b64 v[8:9], v74 offset:4224
	ds_read_b64 v[10:11], v74 offset:9152
.LBB0_19:
	s_or_b64 exec, exec, s[2:3]
	v_add_f64 v[50:51], v[2:3], -v[6:7]
	v_fma_f64 v[48:49], v[2:3], 2.0, -v[50:51]
	v_add_f64 v[2:3], v[30:31], -v[34:35]
	v_sub_u32_e32 v39, 0, v0
	v_sub_u32_e32 v38, 0, v1
	v_add_f64 v[54:55], v[12:13], -v[16:17]
	v_add_f64 v[58:59], v[20:21], -v[24:25]
	v_fma_f64 v[0:1], v[30:31], 2.0, -v[2:3]
	v_fma_f64 v[52:53], v[12:13], 2.0, -v[54:55]
	;; [unrolled: 1-line block ×3, first 2 shown]
	s_waitcnt lgkmcnt(0)
	s_barrier
	ds_write_b128 v15, v[48:51]
	ds_write_b128 v18, v[52:55]
	;; [unrolled: 1-line block ×3, first 2 shown]
	s_and_saveexec_b64 s[2:3], s[0:1]
	s_cbranch_execz .LBB0_21
; %bb.20:
	ds_write_b128 v14, v[0:3]
.LBB0_21:
	s_or_b64 exec, exec, s[2:3]
	v_add_u32_e32 v6, 0x1200, v74
	v_add_u32_e32 v75, v18, v39
	s_waitcnt lgkmcnt(0)
	s_barrier
	ds_read2_b64 v[12:15], v6 offset0:40 offset1:216
	ds_read_b64 v[34:35], v75
	v_add_u32_e32 v76, v19, v38
	ds_read_b64 v[50:51], v74 offset:7744
	ds_read_b64 v[48:49], v74
	ds_read_b64 v[38:39], v76
	v_lshlrev_b32_e32 v59, 1, v73
	v_lshlrev_b32_e32 v60, 1, v44
	;; [unrolled: 1-line block ×3, first 2 shown]
	s_and_saveexec_b64 s[2:3], s[0:1]
	s_cbranch_execz .LBB0_23
; %bb.22:
	ds_read_b64 v[0:1], v74 offset:4224
	ds_read_b64 v[2:3], v74 offset:9152
.LBB0_23:
	s_or_b64 exec, exec, s[2:3]
	v_and_b32_e32 v52, 1, v73
	v_lshlrev_b32_e32 v6, 4, v52
	global_load_dwordx4 v[16:19], v6, s[8:9]
	s_movk_i32 s2, 0x1fc
	s_movk_i32 s3, 0x3fc
	;; [unrolled: 1-line block ×3, first 2 shown]
	v_and_or_b32 v6, v59, s2, v52
	v_and_or_b32 v7, v60, s3, v52
	;; [unrolled: 1-line block ×3, first 2 shown]
	v_lshl_add_u32 v53, v6, 3, 0
	v_lshl_add_u32 v54, v7, 3, 0
	;; [unrolled: 1-line block ×3, first 2 shown]
	v_lshlrev_b32_e32 v58, 1, v46
	s_waitcnt lgkmcnt(0)
	s_barrier
	s_waitcnt vmcnt(0)
	v_mul_f64 v[6:7], v[12:13], v[18:19]
	v_mul_f64 v[20:21], v[14:15], v[18:19]
	;; [unrolled: 1-line block ×4, first 2 shown]
	v_fma_f64 v[6:7], v[26:27], v[16:17], -v[6:7]
	v_fma_f64 v[20:21], v[28:29], v[16:17], -v[20:21]
	;; [unrolled: 1-line block ×4, first 2 shown]
	v_add_f64 v[6:7], v[4:5], -v[6:7]
	v_add_f64 v[44:45], v[36:37], -v[20:21]
	;; [unrolled: 1-line block ×4, first 2 shown]
	v_fma_f64 v[4:5], v[4:5], 2.0, -v[6:7]
	v_fma_f64 v[30:31], v[8:9], 2.0, -v[20:21]
	;; [unrolled: 1-line block ×4, first 2 shown]
	ds_write2_b64 v53, v[4:5], v[6:7] offset1:2
	ds_write2_b64 v54, v[36:37], v[44:45] offset1:2
	ds_write2_b64 v55, v[32:33], v[24:25] offset1:2
	s_and_saveexec_b64 s[2:3], s[0:1]
	s_cbranch_execz .LBB0_25
; %bb.24:
	s_movk_i32 s4, 0x5fc
	v_and_or_b32 v4, v58, s4, v52
	v_lshl_add_u32 v4, v4, 3, 0
	ds_write2_b64 v4, v[30:31], v[20:21] offset1:2
.LBB0_25:
	s_or_b64 exec, exec, s[2:3]
	v_add_u32_e32 v4, 0x1200, v74
	s_waitcnt lgkmcnt(0)
	s_barrier
	ds_read2_b64 v[4:7], v4 offset0:40 offset1:216
	ds_read_b64 v[36:37], v75
	ds_read_b64 v[24:25], v74 offset:7744
	ds_read_b64 v[46:47], v74
	ds_read_b64 v[44:45], v76
	s_and_saveexec_b64 s[2:3], s[0:1]
	s_cbranch_execz .LBB0_27
; %bb.26:
	ds_read_b64 v[30:31], v74 offset:4224
	ds_read_b64 v[20:21], v74 offset:9152
.LBB0_27:
	s_or_b64 exec, exec, s[2:3]
	v_mul_f64 v[8:9], v[26:27], v[18:19]
	v_fmac_f64_e32 v[8:9], v[12:13], v[16:17]
	v_mul_f64 v[12:13], v[28:29], v[18:19]
	v_mul_f64 v[10:11], v[10:11], v[18:19]
	v_fmac_f64_e32 v[12:13], v[14:15], v[16:17]
	v_mul_f64 v[14:15], v[22:23], v[18:19]
	v_fmac_f64_e32 v[10:11], v[2:3], v[16:17]
	v_fmac_f64_e32 v[14:15], v[50:51], v[16:17]
	v_add_f64 v[2:3], v[48:49], -v[8:9]
	v_add_f64 v[18:19], v[0:1], -v[10:11]
	v_fma_f64 v[8:9], v[48:49], 2.0, -v[2:3]
	v_add_f64 v[12:13], v[34:35], -v[12:13]
	v_add_f64 v[14:15], v[38:39], -v[14:15]
	v_fma_f64 v[16:17], v[0:1], 2.0, -v[18:19]
	v_fma_f64 v[22:23], v[34:35], 2.0, -v[12:13]
	;; [unrolled: 1-line block ×3, first 2 shown]
	s_waitcnt lgkmcnt(0)
	s_barrier
	ds_write2_b64 v53, v[8:9], v[2:3] offset1:2
	ds_write2_b64 v54, v[22:23], v[12:13] offset1:2
	;; [unrolled: 1-line block ×3, first 2 shown]
	s_and_saveexec_b64 s[2:3], s[0:1]
	s_cbranch_execz .LBB0_29
; %bb.28:
	s_movk_i32 s4, 0x5fc
	v_and_or_b32 v0, v58, s4, v52
	v_lshl_add_u32 v0, v0, 3, 0
	ds_write2_b64 v0, v[16:17], v[18:19] offset1:2
.LBB0_29:
	s_or_b64 exec, exec, s[2:3]
	v_add_u32_e32 v0, 0x1200, v74
	s_waitcnt lgkmcnt(0)
	s_barrier
	ds_read2_b64 v[8:11], v0 offset0:40 offset1:216
	ds_read_b64 v[26:27], v75
	ds_read_b64 v[48:49], v74 offset:7744
	ds_read_b64 v[38:39], v74
	ds_read_b64 v[28:29], v76
	s_and_saveexec_b64 s[2:3], s[0:1]
	s_cbranch_execz .LBB0_31
; %bb.30:
	ds_read_b64 v[16:17], v74 offset:4224
	ds_read_b64 v[18:19], v74 offset:9152
.LBB0_31:
	s_or_b64 exec, exec, s[2:3]
	v_and_b32_e32 v50, 3, v73
	v_lshlrev_b32_e32 v0, 4, v50
	global_load_dwordx4 v[12:15], v0, s[8:9] offset:32
	s_movk_i32 s2, 0x1f8
	s_movk_i32 s3, 0x3f8
	;; [unrolled: 1-line block ×3, first 2 shown]
	v_and_or_b32 v0, v59, s2, v50
	v_and_or_b32 v1, v60, s3, v50
	;; [unrolled: 1-line block ×3, first 2 shown]
	v_lshl_add_u32 v51, v0, 3, 0
	v_lshl_add_u32 v62, v1, 3, 0
	;; [unrolled: 1-line block ×3, first 2 shown]
	s_waitcnt lgkmcnt(0)
	s_barrier
	s_waitcnt vmcnt(0)
	v_mul_f64 v[0:1], v[8:9], v[14:15]
	v_mul_f64 v[32:33], v[18:19], v[14:15]
	;; [unrolled: 1-line block ×4, first 2 shown]
	v_fma_f64 v[0:1], v[4:5], v[12:13], -v[0:1]
	v_fma_f64 v[32:33], v[20:21], v[12:13], -v[32:33]
	v_fma_f64 v[2:3], v[6:7], v[12:13], -v[2:3]
	v_fma_f64 v[22:23], v[24:25], v[12:13], -v[22:23]
	v_add_f64 v[0:1], v[46:47], -v[0:1]
	v_add_f64 v[32:33], v[30:31], -v[32:33]
	;; [unrolled: 1-line block ×4, first 2 shown]
	v_fma_f64 v[46:47], v[46:47], 2.0, -v[0:1]
	v_fma_f64 v[22:23], v[30:31], 2.0, -v[32:33]
	v_fma_f64 v[36:37], v[36:37], 2.0, -v[2:3]
	v_fma_f64 v[44:45], v[44:45], 2.0, -v[34:35]
	ds_write2_b64 v51, v[46:47], v[0:1] offset1:4
	ds_write2_b64 v62, v[36:37], v[2:3] offset1:4
	;; [unrolled: 1-line block ×3, first 2 shown]
	s_and_saveexec_b64 s[2:3], s[0:1]
	s_cbranch_execz .LBB0_33
; %bb.32:
	s_movk_i32 s4, 0x5f8
	v_and_or_b32 v0, v58, s4, v50
	v_lshl_add_u32 v0, v0, 3, 0
	ds_write2_b64 v0, v[22:23], v[32:33] offset1:4
.LBB0_33:
	s_or_b64 exec, exec, s[2:3]
	v_add_u32_e32 v0, 0x1200, v74
	s_waitcnt lgkmcnt(0)
	s_barrier
	ds_read2_b64 v[0:3], v0 offset0:40 offset1:216
	ds_read_b64 v[52:53], v75
	ds_read_b64 v[34:35], v74 offset:7744
	ds_read_b64 v[56:57], v74
	ds_read_b64 v[54:55], v76
	v_lshl_add_u32 v77, v73, 3, 0
	s_and_saveexec_b64 s[2:3], s[0:1]
	s_cbranch_execz .LBB0_35
; %bb.34:
	ds_read_b64 v[22:23], v77 offset:4224
	ds_read_b64 v[32:33], v74 offset:9152
.LBB0_35:
	s_or_b64 exec, exec, s[2:3]
	v_mul_f64 v[4:5], v[4:5], v[14:15]
	v_mul_f64 v[6:7], v[6:7], v[14:15]
	v_fmac_f64_e32 v[4:5], v[8:9], v[12:13]
	v_fmac_f64_e32 v[6:7], v[10:11], v[12:13]
	v_mul_f64 v[10:11], v[20:21], v[14:15]
	v_mul_f64 v[8:9], v[24:25], v[14:15]
	v_fmac_f64_e32 v[10:11], v[18:19], v[12:13]
	v_add_f64 v[4:5], v[38:39], -v[4:5]
	v_fmac_f64_e32 v[8:9], v[48:49], v[12:13]
	v_fma_f64 v[12:13], v[38:39], 2.0, -v[4:5]
	v_add_f64 v[38:39], v[16:17], -v[10:11]
	v_add_f64 v[6:7], v[26:27], -v[6:7]
	;; [unrolled: 1-line block ×3, first 2 shown]
	v_fma_f64 v[36:37], v[16:17], 2.0, -v[38:39]
	v_fma_f64 v[14:15], v[26:27], 2.0, -v[6:7]
	;; [unrolled: 1-line block ×3, first 2 shown]
	s_waitcnt lgkmcnt(0)
	s_barrier
	ds_write2_b64 v51, v[12:13], v[4:5] offset1:4
	ds_write2_b64 v62, v[14:15], v[6:7] offset1:4
	;; [unrolled: 1-line block ×3, first 2 shown]
	s_and_saveexec_b64 s[2:3], s[0:1]
	s_cbranch_execz .LBB0_37
; %bb.36:
	s_movk_i32 s4, 0x5f8
	v_and_or_b32 v4, v58, s4, v50
	v_lshl_add_u32 v4, v4, 3, 0
	ds_write2_b64 v4, v[36:37], v[38:39] offset1:4
.LBB0_37:
	s_or_b64 exec, exec, s[2:3]
	v_add_u32_e32 v4, 0x1200, v74
	s_waitcnt lgkmcnt(0)
	s_barrier
	ds_read2_b64 v[24:27], v4 offset0:40 offset1:216
	ds_read_b64 v[44:45], v75
	ds_read_b64 v[50:51], v74 offset:7744
	ds_read_b64 v[48:49], v74
	ds_read_b64 v[46:47], v76
	s_and_saveexec_b64 s[2:3], s[0:1]
	s_cbranch_execz .LBB0_39
; %bb.38:
	ds_read_b64 v[36:37], v77 offset:4224
	ds_read_b64 v[38:39], v74 offset:9152
.LBB0_39:
	s_or_b64 exec, exec, s[2:3]
	v_and_b32_e32 v62, 7, v73
	v_lshlrev_b32_e32 v4, 4, v62
	global_load_dwordx4 v[28:31], v4, s[8:9] offset:96
	s_movk_i32 s2, 0x1f0
	s_movk_i32 s3, 0x3f0
	;; [unrolled: 1-line block ×3, first 2 shown]
	v_and_or_b32 v4, v59, s2, v62
	v_and_or_b32 v5, v60, s3, v62
	;; [unrolled: 1-line block ×3, first 2 shown]
	v_lshl_add_u32 v59, v4, 3, 0
	v_lshl_add_u32 v60, v5, 3, 0
	;; [unrolled: 1-line block ×3, first 2 shown]
	s_waitcnt lgkmcnt(0)
	s_barrier
	s_waitcnt vmcnt(0)
	v_mul_f64 v[4:5], v[24:25], v[30:31]
	v_mul_f64 v[6:7], v[26:27], v[30:31]
	v_mul_f64 v[8:9], v[50:51], v[30:31]
	v_mul_f64 v[10:11], v[38:39], v[30:31]
	v_fma_f64 v[4:5], v[0:1], v[28:29], -v[4:5]
	v_fma_f64 v[12:13], v[2:3], v[28:29], -v[6:7]
	;; [unrolled: 1-line block ×4, first 2 shown]
	v_add_f64 v[6:7], v[56:57], -v[4:5]
	v_add_f64 v[10:11], v[52:53], -v[12:13]
	v_add_f64 v[14:15], v[54:55], -v[8:9]
	v_add_f64 v[18:19], v[22:23], -v[16:17]
	v_fma_f64 v[4:5], v[56:57], 2.0, -v[6:7]
	v_fma_f64 v[8:9], v[52:53], 2.0, -v[10:11]
	;; [unrolled: 1-line block ×4, first 2 shown]
	ds_write2_b64 v59, v[4:5], v[6:7] offset1:8
	ds_write2_b64 v60, v[8:9], v[10:11] offset1:8
	;; [unrolled: 1-line block ×3, first 2 shown]
	s_and_saveexec_b64 s[2:3], s[0:1]
	s_cbranch_execz .LBB0_41
; %bb.40:
	s_movk_i32 s4, 0x5f0
	v_and_or_b32 v20, v58, s4, v62
	v_lshl_add_u32 v20, v20, 3, 0
	ds_write2_b64 v20, v[16:17], v[18:19] offset1:8
.LBB0_41:
	s_or_b64 exec, exec, s[2:3]
	s_movk_i32 s2, 0x70
	v_cmp_gt_u32_e64 s[2:3], s2, v73
	s_waitcnt lgkmcnt(0)
	s_barrier
	s_waitcnt lgkmcnt(0)
                                        ; implicit-def: $vgpr22_vgpr23
                                        ; implicit-def: $vgpr64_vgpr65
	s_and_saveexec_b64 s[4:5], s[2:3]
	s_cbranch_execz .LBB0_43
; %bb.42:
	v_add_u32_e32 v8, 0x400, v74
	v_add_u32_e32 v12, 0xc00, v74
	;; [unrolled: 1-line block ×4, first 2 shown]
	ds_read2_b64 v[4:7], v74 offset1:112
	ds_read2_b64 v[8:11], v8 offset0:96 offset1:208
	ds_read2_b64 v[12:15], v12 offset0:64 offset1:176
	;; [unrolled: 1-line block ×3, first 2 shown]
	ds_read_b64 v[64:65], v77 offset:7168
	ds_read2_b64 v[20:23], v20 offset0:112 offset1:224
.LBB0_43:
	s_or_b64 exec, exec, s[4:5]
	v_mul_f64 v[0:1], v[0:1], v[30:31]
	v_fmac_f64_e32 v[0:1], v[24:25], v[28:29]
	v_mul_f64 v[24:25], v[2:3], v[30:31]
	v_mul_f64 v[34:35], v[34:35], v[30:31]
	v_mul_f64 v[32:33], v[32:33], v[30:31]
	v_fmac_f64_e32 v[24:25], v[26:27], v[28:29]
	v_fmac_f64_e32 v[34:35], v[50:51], v[28:29]
	;; [unrolled: 1-line block ×3, first 2 shown]
	v_add_f64 v[2:3], v[48:49], -v[0:1]
	v_add_f64 v[26:27], v[44:45], -v[24:25]
	;; [unrolled: 1-line block ×4, first 2 shown]
	v_fma_f64 v[0:1], v[48:49], 2.0, -v[2:3]
	v_fma_f64 v[24:25], v[44:45], 2.0, -v[26:27]
	;; [unrolled: 1-line block ×4, first 2 shown]
	s_waitcnt lgkmcnt(0)
	s_barrier
	ds_write2_b64 v59, v[0:1], v[2:3] offset1:8
	ds_write2_b64 v60, v[24:25], v[26:27] offset1:8
	;; [unrolled: 1-line block ×3, first 2 shown]
	s_and_saveexec_b64 s[4:5], s[0:1]
	s_cbranch_execz .LBB0_45
; %bb.44:
	s_movk_i32 s0, 0x5f0
	v_and_or_b32 v36, v58, s0, v62
	v_lshl_add_u32 v36, v36, 3, 0
	ds_write2_b64 v36, v[32:33], v[34:35] offset1:8
.LBB0_45:
	s_or_b64 exec, exec, s[4:5]
	s_waitcnt lgkmcnt(0)
	s_barrier
	s_waitcnt lgkmcnt(0)
                                        ; implicit-def: $vgpr38_vgpr39
                                        ; implicit-def: $vgpr70_vgpr71
	s_and_saveexec_b64 s[0:1], s[2:3]
	s_cbranch_execz .LBB0_47
; %bb.46:
	v_add_u32_e32 v24, 0x400, v74
	v_add_u32_e32 v28, 0xc00, v74
	;; [unrolled: 1-line block ×4, first 2 shown]
	ds_read2_b64 v[0:3], v74 offset1:112
	ds_read2_b64 v[24:27], v24 offset0:96 offset1:208
	ds_read2_b64 v[28:31], v28 offset0:64 offset1:176
	;; [unrolled: 1-line block ×3, first 2 shown]
	ds_read_b64 v[70:71], v77 offset:7168
	ds_read2_b64 v[36:39], v36 offset0:112 offset1:224
.LBB0_47:
	s_or_b64 exec, exec, s[0:1]
	v_and_b32_e32 v78, 15, v73
	v_mul_u32_u24_e32 v44, 10, v78
	v_lshlrev_b32_e32 v44, 4, v44
	global_load_dwordx4 v[56:59], v44, s[8:9] offset:240
	global_load_dwordx4 v[80:83], v44, s[8:9] offset:256
	;; [unrolled: 1-line block ×10, first 2 shown]
	s_waitcnt lgkmcnt(0)
	s_barrier
	s_waitcnt vmcnt(9)
	v_mul_f64 v[62:63], v[24:25], v[58:59]
	v_mul_f64 v[58:59], v[8:9], v[58:59]
	s_waitcnt vmcnt(8)
	v_mul_f64 v[116:117], v[26:27], v[82:83]
	v_mul_f64 v[52:53], v[10:11], v[82:83]
	;; [unrolled: 3-line block ×10, first 2 shown]
	v_fma_f64 v[62:63], v[8:9], v[56:57], -v[62:63]
	v_fmac_f64_e32 v[58:59], v[24:25], v[56:57]
	v_fma_f64 v[56:57], v[10:11], v[80:81], -v[116:117]
	v_fmac_f64_e32 v[52:53], v[26:27], v[80:81]
	;; [unrolled: 2-line block ×10, first 2 shown]
	v_lshrrev_b32_e32 v32, 4, v73
	s_and_saveexec_b64 s[0:1], s[2:3]
	s_cbranch_execz .LBB0_49
; %bb.48:
	s_mov_b32 s22, 0xfd768dbf
	s_mov_b32 s28, 0xf8bb580b
	v_add_f64 v[82:83], v[66:67], -v[68:69]
	s_mov_b32 s23, 0xbfd207e7
	s_mov_b32 s24, 0x9bcd5057
	;; [unrolled: 1-line block ×3, first 2 shown]
	v_add_f64 v[38:39], v[58:59], -v[60:61]
	s_mov_b32 s29, 0x3fe14ced
	s_mov_b32 s20, 0x8764f0ba
	v_add_f64 v[80:81], v[28:29], v[30:31]
	v_mul_f64 v[84:85], v[82:83], s[22:23]
	s_mov_b32 s25, 0xbfeeb42a
	v_add_f64 v[22:23], v[52:53], -v[54:55]
	s_mov_b32 s19, 0xbfe82f19
	s_mov_b32 s14, 0x7f775887
	v_add_f64 v[36:37], v[62:63], v[26:27]
	v_mul_f64 v[64:65], v[38:39], s[28:29]
	s_mov_b32 s21, 0x3feaeb8c
	v_fma_f64 v[86:87], s[24:25], v[80:81], v[84:85]
	v_add_f64 v[8:9], v[48:49], -v[50:51]
	s_mov_b32 s13, 0x3fed1bb4
	s_mov_b32 s12, 0x8eee2c13
	;; [unrolled: 1-line block ×3, first 2 shown]
	v_add_f64 v[20:21], v[56:57], v[16:17]
	v_mul_f64 v[34:35], v[22:23], s[18:19]
	s_mov_b32 s15, 0xbfe4f49e
	v_fma_f64 v[70:71], s[20:21], v[36:37], v[64:65]
	v_add_f64 v[86:87], v[4:5], v[86:87]
	v_add_f64 v[6:7], v[24:25], v[14:15]
	v_mul_f64 v[18:19], v[8:9], s[12:13]
	s_mov_b32 s5, 0x3fda9628
	v_add_f64 v[70:71], v[70:71], v[86:87]
	v_fma_f64 v[86:87], s[14:15], v[20:21], v[34:35]
	v_fma_f64 v[84:85], v[80:81], s[24:25], -v[84:85]
	v_add_f64 v[70:71], v[86:87], v[70:71]
	v_fma_f64 v[86:87], s[4:5], v[6:7], v[18:19]
	s_mov_b32 s30, 0x43842ef
	v_fma_f64 v[64:65], v[36:37], s[20:21], -v[64:65]
	v_add_f64 v[84:85], v[4:5], v[84:85]
	v_add_f64 v[70:71], v[86:87], v[70:71]
	v_add_f64 v[86:87], v[44:45], -v[46:47]
	s_mov_b32 s31, 0xbfefac9e
	s_mov_b32 s26, 0x640f44db
	v_add_f64 v[64:65], v[64:65], v[84:85]
	v_fma_f64 v[34:35], v[20:21], s[14:15], -v[34:35]
	v_add_f64 v[2:3], v[10:11], v[12:13]
	s_mov_b32 s27, 0xbfc2375f
	v_mul_f64 v[88:89], v[86:87], s[30:31]
	v_fma_f64 v[18:19], v[6:7], s[4:5], -v[18:19]
	v_add_f64 v[34:35], v[34:35], v[64:65]
	v_fma_f64 v[84:85], v[2:3], s[26:27], -v[88:89]
	v_add_f64 v[18:19], v[18:19], v[34:35]
	s_mov_b32 s37, 0x3fefac9e
	s_mov_b32 s36, s30
	v_mul_f64 v[64:65], v[82:83], s[18:19]
	v_add_f64 v[18:19], v[84:85], v[18:19]
	v_mul_f64 v[34:35], v[38:39], s[36:37]
	v_fma_f64 v[84:85], s[14:15], v[80:81], v[64:65]
	v_fma_f64 v[90:91], s[26:27], v[2:3], v[88:89]
	v_add_f64 v[84:85], v[4:5], v[84:85]
	v_fma_f64 v[88:89], s[26:27], v[36:37], v[34:35]
	s_mov_b32 s35, 0xbfe14ced
	s_mov_b32 s34, s28
	v_add_f64 v[84:85], v[88:89], v[84:85]
	v_mul_f64 v[88:89], v[22:23], s[34:35]
	v_add_f64 v[70:71], v[90:91], v[70:71]
	v_fma_f64 v[90:91], s[20:21], v[20:21], v[88:89]
	v_fma_f64 v[64:65], v[80:81], s[14:15], -v[64:65]
	v_add_f64 v[84:85], v[90:91], v[84:85]
	v_mul_f64 v[90:91], v[8:9], s[22:23]
	v_fma_f64 v[34:35], v[36:37], s[26:27], -v[34:35]
	v_add_f64 v[64:65], v[4:5], v[64:65]
	v_fma_f64 v[92:93], s[24:25], v[6:7], v[90:91]
	v_add_f64 v[34:35], v[34:35], v[64:65]
	v_fma_f64 v[64:65], v[20:21], s[20:21], -v[88:89]
	v_add_f64 v[84:85], v[92:93], v[84:85]
	v_mul_f64 v[92:93], v[86:87], s[12:13]
	v_add_f64 v[34:35], v[64:65], v[34:35]
	v_fma_f64 v[64:65], v[6:7], s[24:25], -v[90:91]
	v_add_f64 v[34:35], v[64:65], v[34:35]
	v_fma_f64 v[64:65], v[2:3], s[4:5], -v[92:93]
	v_add_f64 v[34:35], v[64:65], v[34:35]
	s_mov_b32 s39, 0x3fd207e7
	s_mov_b32 s38, s22
	v_mul_f64 v[64:65], v[82:83], s[30:31]
	v_fma_f64 v[88:89], s[26:27], v[80:81], v[64:65]
	v_mul_f64 v[90:91], v[38:39], s[38:39]
	v_fma_f64 v[94:95], s[4:5], v[2:3], v[92:93]
	v_add_f64 v[88:89], v[4:5], v[88:89]
	v_fma_f64 v[92:93], s[24:25], v[36:37], v[90:91]
	v_add_f64 v[88:89], v[92:93], v[88:89]
	v_mul_f64 v[92:93], v[22:23], s[12:13]
	v_add_f64 v[84:85], v[94:95], v[84:85]
	v_fma_f64 v[94:95], s[4:5], v[20:21], v[92:93]
	v_fma_f64 v[64:65], v[80:81], s[26:27], -v[64:65]
	v_add_f64 v[88:89], v[94:95], v[88:89]
	v_mul_f64 v[94:95], v[8:9], s[34:35]
	v_fma_f64 v[90:91], v[36:37], s[24:25], -v[90:91]
	v_add_f64 v[64:65], v[4:5], v[64:65]
	v_fma_f64 v[96:97], s[20:21], v[6:7], v[94:95]
	v_add_f64 v[64:65], v[90:91], v[64:65]
	v_fma_f64 v[90:91], v[20:21], s[4:5], -v[92:93]
	v_add_f64 v[88:89], v[96:97], v[88:89]
	v_mul_f64 v[96:97], v[86:87], s[18:19]
	v_add_f64 v[64:65], v[90:91], v[64:65]
	v_fma_f64 v[90:91], v[6:7], s[20:21], -v[94:95]
	v_add_f64 v[64:65], v[90:91], v[64:65]
	v_fma_f64 v[90:91], v[2:3], s[14:15], -v[96:97]
	s_mov_b32 s13, 0xbfed1bb4
	v_add_f64 v[64:65], v[90:91], v[64:65]
	v_mul_f64 v[90:91], v[82:83], s[12:13]
	v_fma_f64 v[92:93], s[4:5], v[80:81], v[90:91]
	v_mul_f64 v[94:95], v[38:39], s[18:19]
	v_fma_f64 v[98:99], s[14:15], v[2:3], v[96:97]
	v_add_f64 v[92:93], v[4:5], v[92:93]
	v_fma_f64 v[96:97], s[14:15], v[36:37], v[94:95]
	v_add_f64 v[92:93], v[96:97], v[92:93]
	v_mul_f64 v[96:97], v[22:23], s[38:39]
	v_add_f64 v[88:89], v[98:99], v[88:89]
	v_fma_f64 v[98:99], s[24:25], v[20:21], v[96:97]
	v_fma_f64 v[90:91], v[80:81], s[4:5], -v[90:91]
	v_add_f64 v[92:93], v[98:99], v[92:93]
	v_mul_f64 v[98:99], v[8:9], s[36:37]
	v_fma_f64 v[94:95], v[36:37], s[14:15], -v[94:95]
	v_add_f64 v[90:91], v[4:5], v[90:91]
	v_fma_f64 v[100:101], s[26:27], v[6:7], v[98:99]
	v_add_f64 v[90:91], v[94:95], v[90:91]
	v_fma_f64 v[94:95], v[20:21], s[24:25], -v[96:97]
	v_add_f64 v[92:93], v[100:101], v[92:93]
	v_mul_f64 v[100:101], v[86:87], s[28:29]
	v_add_f64 v[90:91], v[94:95], v[90:91]
	v_fma_f64 v[94:95], v[6:7], s[26:27], -v[98:99]
	v_add_f64 v[90:91], v[94:95], v[90:91]
	v_fma_f64 v[94:95], v[2:3], s[20:21], -v[100:101]
	v_mul_f64 v[82:83], v[82:83], s[34:35]
	v_add_f64 v[90:91], v[94:95], v[90:91]
	v_mul_f64 v[38:39], v[38:39], s[12:13]
	v_fma_f64 v[94:95], s[20:21], v[80:81], v[82:83]
	v_add_f64 v[94:95], v[4:5], v[94:95]
	v_fma_f64 v[96:97], s[4:5], v[36:37], v[38:39]
	v_mul_f64 v[22:23], v[22:23], s[30:31]
	v_add_f64 v[94:95], v[96:97], v[94:95]
	v_fma_f64 v[96:97], s[26:27], v[20:21], v[22:23]
	v_mul_f64 v[8:9], v[8:9], s[18:19]
	v_add_f64 v[94:95], v[96:97], v[94:95]
	v_fma_f64 v[96:97], s[14:15], v[6:7], v[8:9]
	v_fma_f64 v[6:7], v[6:7], s[14:15], -v[8:9]
	v_fma_f64 v[8:9], v[20:21], s[26:27], -v[22:23]
	;; [unrolled: 1-line block ×3, first 2 shown]
	v_add_f64 v[22:23], v[4:5], v[22:23]
	v_add_f64 v[4:5], v[4:5], v[28:29]
	;; [unrolled: 1-line block ×4, first 2 shown]
	v_fma_f64 v[20:21], v[36:37], s[4:5], -v[38:39]
	v_add_f64 v[4:5], v[4:5], v[24:25]
	v_add_f64 v[20:21], v[20:21], v[22:23]
	;; [unrolled: 1-line block ×3, first 2 shown]
	v_mul_f64 v[86:87], v[86:87], s[22:23]
	v_add_f64 v[8:9], v[8:9], v[20:21]
	v_add_f64 v[4:5], v[4:5], v[12:13]
	v_fma_f64 v[102:103], s[20:21], v[2:3], v[100:101]
	v_add_f64 v[94:95], v[96:97], v[94:95]
	v_fma_f64 v[96:97], s[24:25], v[2:3], v[86:87]
	v_fma_f64 v[2:3], v[2:3], s[24:25], -v[86:87]
	v_add_f64 v[6:7], v[6:7], v[8:9]
	v_add_f64 v[4:5], v[4:5], v[14:15]
	;; [unrolled: 1-line block ×4, first 2 shown]
	v_mul_u32_u24_e32 v6, 0xb0, v32
	v_add_f64 v[4:5], v[4:5], v[26:27]
	v_or_b32_e32 v6, v6, v78
	v_add_f64 v[4:5], v[4:5], v[30:31]
	v_lshl_add_u32 v6, v6, 3, 0
	v_add_f64 v[92:93], v[102:103], v[92:93]
	v_add_f64 v[94:95], v[96:97], v[94:95]
	ds_write2_b64 v6, v[4:5], v[2:3] offset1:16
	ds_write2_b64 v6, v[90:91], v[64:65] offset0:32 offset1:48
	ds_write2_b64 v6, v[34:35], v[18:19] offset0:64 offset1:80
	;; [unrolled: 1-line block ×4, first 2 shown]
	ds_write_b64 v6, v[94:95] offset:1280
.LBB0_49:
	s_or_b64 exec, exec, s[0:1]
	s_waitcnt lgkmcnt(0)
	s_barrier
	ds_read2st64_b64 v[2:5], v74 offset1:11
	ds_read_b64 v[18:19], v75
	ds_read_b64 v[20:21], v76
	ds_read_b64 v[22:23], v77 offset:4224
	v_add_u32_e32 v6, 0x1a00, v74
	ds_read2_b64 v[6:9], v6 offset0:48 offset1:224
	s_waitcnt lgkmcnt(0)
	s_barrier
	s_and_saveexec_b64 s[0:1], s[2:3]
	s_cbranch_execz .LBB0_51
; %bb.50:
	v_add_f64 v[34:35], v[0:1], v[66:67]
	v_add_f64 v[34:35], v[34:35], v[58:59]
	v_add_f64 v[34:35], v[34:35], v[52:53]
	v_add_f64 v[34:35], v[34:35], v[48:49]
	v_add_f64 v[34:35], v[34:35], v[44:45]
	v_add_f64 v[34:35], v[34:35], v[46:47]
	v_add_f64 v[34:35], v[34:35], v[50:51]
	v_add_f64 v[34:35], v[34:35], v[54:55]
	s_mov_b32 s20, 0xf8bb580b
	s_mov_b32 s14, 0x43842ef
	;; [unrolled: 1-line block ×4, first 2 shown]
	v_add_f64 v[34:35], v[34:35], v[60:61]
	v_add_f64 v[28:29], v[28:29], -v[30:31]
	s_mov_b32 s21, 0xbfe14ced
	s_mov_b32 s2, 0x8764f0ba
	;; [unrolled: 1-line block ×11, first 2 shown]
	v_add_f64 v[34:35], v[34:35], v[68:69]
	v_add_f64 v[36:37], v[66:67], v[68:69]
	v_mul_f64 v[30:31], v[28:29], s[20:21]
	s_mov_b32 s3, 0x3feaeb8c
	v_mul_f64 v[64:65], v[28:29], s[4:5]
	s_mov_b32 s13, 0x3fda9628
	;; [unrolled: 2-line block ×5, first 2 shown]
	v_fma_f64 v[38:39], s[2:3], v[36:37], v[30:31]
	v_fma_f64 v[30:31], v[36:37], s[2:3], -v[30:31]
	v_fma_f64 v[66:67], s[12:13], v[36:37], v[64:65]
	v_fma_f64 v[64:65], v[36:37], s[12:13], -v[64:65]
	;; [unrolled: 2-line block ×5, first 2 shown]
	v_add_f64 v[26:27], v[62:63], -v[26:27]
	v_add_f64 v[38:39], v[0:1], v[38:39]
	v_add_f64 v[30:31], v[0:1], v[30:31]
	;; [unrolled: 1-line block ×11, first 2 shown]
	v_mul_f64 v[36:37], v[26:27], s[4:5]
	v_fma_f64 v[58:59], s[12:13], v[28:29], v[36:37]
	v_fma_f64 v[36:37], v[28:29], s[12:13], -v[36:37]
	v_add_f64 v[30:31], v[36:37], v[30:31]
	v_mul_f64 v[36:37], v[26:27], s[22:23]
	s_mov_b32 s31, 0x3fd207e7
	s_mov_b32 s30, s26
	v_add_f64 v[38:39], v[58:59], v[38:39]
	v_fma_f64 v[58:59], s[24:25], v[28:29], v[36:37]
	v_fma_f64 v[36:37], v[28:29], s[24:25], -v[36:37]
	v_mul_f64 v[60:61], v[26:27], s[30:31]
	s_mov_b32 s35, 0x3fefac9e
	s_mov_b32 s34, s14
	;; [unrolled: 1-line block ×4, first 2 shown]
	v_add_f64 v[36:37], v[36:37], v[64:65]
	v_fma_f64 v[62:63], s[28:29], v[28:29], v[60:61]
	v_fma_f64 v[60:61], v[28:29], s[28:29], -v[60:61]
	v_mul_f64 v[64:65], v[26:27], s[34:35]
	v_mul_f64 v[26:27], v[26:27], s[36:37]
	v_add_f64 v[60:61], v[60:61], v[68:69]
	v_fma_f64 v[68:69], s[2:3], v[28:29], v[26:27]
	v_fma_f64 v[26:27], v[28:29], s[2:3], -v[26:27]
	v_add_f64 v[16:17], v[56:57], -v[16:17]
	v_add_f64 v[58:59], v[58:59], v[66:67]
	v_fma_f64 v[66:67], s[18:19], v[28:29], v[64:65]
	v_fma_f64 v[64:65], v[28:29], s[18:19], -v[64:65]
	v_add_f64 v[0:1], v[26:27], v[0:1]
	v_add_f64 v[26:27], v[52:53], v[54:55]
	v_mul_f64 v[28:29], v[16:17], s[14:15]
	v_fma_f64 v[52:53], s[18:19], v[26:27], v[28:29]
	v_fma_f64 v[28:29], v[26:27], s[18:19], -v[28:29]
	v_add_f64 v[28:29], v[28:29], v[30:31]
	v_mul_f64 v[30:31], v[16:17], s[30:31]
	v_add_f64 v[38:39], v[52:53], v[38:39]
	v_fma_f64 v[52:53], s[28:29], v[26:27], v[30:31]
	v_fma_f64 v[30:31], v[26:27], s[28:29], -v[30:31]
	s_mov_b32 s5, 0x3fed1bb4
	v_add_f64 v[30:31], v[30:31], v[36:37]
	v_mul_f64 v[36:37], v[16:17], s[4:5]
	v_fma_f64 v[54:55], s[12:13], v[26:27], v[36:37]
	v_fma_f64 v[36:37], v[26:27], s[12:13], -v[36:37]
	v_mul_f64 v[56:57], v[16:17], s[20:21]
	v_mul_f64 v[16:17], v[16:17], s[22:23]
	v_add_f64 v[36:37], v[36:37], v[60:61]
	v_fma_f64 v[60:61], s[24:25], v[26:27], v[16:17]
	v_fma_f64 v[16:17], v[26:27], s[24:25], -v[16:17]
	v_add_f64 v[14:15], v[24:25], -v[14:15]
	v_add_f64 v[0:1], v[16:17], v[0:1]
	v_add_f64 v[16:17], v[48:49], v[50:51]
	v_mul_f64 v[24:25], v[14:15], s[22:23]
	v_add_f64 v[52:53], v[52:53], v[58:59]
	v_fma_f64 v[58:59], s[2:3], v[26:27], v[56:57]
	v_fma_f64 v[56:57], v[26:27], s[2:3], -v[56:57]
	v_fma_f64 v[26:27], s[24:25], v[16:17], v[24:25]
	v_fma_f64 v[24:25], v[16:17], s[24:25], -v[24:25]
	v_add_f64 v[24:25], v[24:25], v[28:29]
	v_mul_f64 v[28:29], v[14:15], s[34:35]
	v_add_f64 v[26:27], v[26:27], v[38:39]
	v_fma_f64 v[38:39], s[18:19], v[16:17], v[28:29]
	v_fma_f64 v[28:29], v[16:17], s[18:19], -v[28:29]
	v_add_f64 v[28:29], v[28:29], v[30:31]
	v_mul_f64 v[30:31], v[14:15], s[20:21]
	v_fma_f64 v[48:49], s[2:3], v[16:17], v[30:31]
	v_fma_f64 v[30:31], v[16:17], s[2:3], -v[30:31]
	v_add_f64 v[30:31], v[30:31], v[36:37]
	v_mul_f64 v[36:37], v[14:15], s[26:27]
	v_mul_f64 v[14:15], v[14:15], s[4:5]
	v_add_f64 v[38:39], v[38:39], v[52:53]
	v_fma_f64 v[52:53], s[12:13], v[16:17], v[14:15]
	v_fma_f64 v[14:15], v[16:17], s[12:13], -v[14:15]
	v_add_f64 v[10:11], v[10:11], -v[12:13]
	v_add_f64 v[0:1], v[14:15], v[0:1]
	v_add_f64 v[14:15], v[44:45], v[46:47]
	v_mul_f64 v[12:13], v[10:11], s[26:27]
	v_fma_f64 v[50:51], s[28:29], v[16:17], v[36:37]
	v_fma_f64 v[36:37], v[16:17], s[28:29], -v[36:37]
	v_fma_f64 v[16:17], s[28:29], v[14:15], v[12:13]
	v_fma_f64 v[12:13], v[14:15], s[28:29], -v[12:13]
	v_add_f64 v[12:13], v[12:13], v[24:25]
	v_mul_f64 v[24:25], v[10:11], s[36:37]
	v_add_f64 v[16:17], v[16:17], v[26:27]
	v_fma_f64 v[26:27], s[2:3], v[14:15], v[24:25]
	v_fma_f64 v[24:25], v[14:15], s[2:3], -v[24:25]
	v_add_f64 v[24:25], v[24:25], v[28:29]
	v_mul_f64 v[28:29], v[10:11], s[22:23]
	v_add_f64 v[64:65], v[64:65], v[80:81]
	v_add_f64 v[26:27], v[26:27], v[38:39]
	v_fma_f64 v[38:39], s[24:25], v[14:15], v[28:29]
	v_fma_f64 v[28:29], v[14:15], s[24:25], -v[28:29]
	v_add_f64 v[56:57], v[56:57], v[64:65]
	v_add_f64 v[28:29], v[28:29], v[30:31]
	v_mul_f64 v[30:31], v[10:11], s[4:5]
	v_add_f64 v[36:37], v[36:37], v[56:57]
	v_fma_f64 v[44:45], s[12:13], v[14:15], v[30:31]
	v_fma_f64 v[30:31], v[14:15], s[12:13], -v[30:31]
	v_mul_f64 v[10:11], v[10:11], s[14:15]
	v_add_f64 v[30:31], v[30:31], v[36:37]
	v_fma_f64 v[36:37], s[18:19], v[14:15], v[10:11]
	v_fma_f64 v[10:11], v[14:15], s[18:19], -v[10:11]
	v_add_f64 v[62:63], v[62:63], v[70:71]
	v_add_f64 v[66:67], v[66:67], v[82:83]
	;; [unrolled: 1-line block ×4, first 2 shown]
	v_mul_u32_u24_e32 v10, 0xb0, v32
	v_add_f64 v[54:55], v[54:55], v[62:63]
	v_add_f64 v[58:59], v[58:59], v[66:67]
	;; [unrolled: 1-line block ×3, first 2 shown]
	v_or_b32_e32 v10, v10, v78
	v_add_f64 v[48:49], v[48:49], v[54:55]
	v_add_f64 v[50:51], v[50:51], v[58:59]
	;; [unrolled: 1-line block ×3, first 2 shown]
	v_lshl_add_u32 v10, v10, 3, 0
	v_add_f64 v[38:39], v[38:39], v[48:49]
	v_add_f64 v[44:45], v[44:45], v[50:51]
	;; [unrolled: 1-line block ×3, first 2 shown]
	ds_write2_b64 v10, v[34:35], v[16:17] offset1:16
	ds_write2_b64 v10, v[26:27], v[38:39] offset0:32 offset1:48
	ds_write2_b64 v10, v[44:45], v[36:37] offset0:64 offset1:80
	;; [unrolled: 1-line block ×4, first 2 shown]
	ds_write_b64 v10, v[12:13] offset:1280
.LBB0_51:
	s_or_b64 exec, exec, s[0:1]
	s_waitcnt lgkmcnt(0)
	s_barrier
	s_and_saveexec_b64 s[0:1], vcc
	s_cbranch_execz .LBB0_53
; %bb.52:
	v_mul_u32_u24_e32 v0, 6, v73
	v_lshlrev_b32_e32 v0, 4, v0
	global_load_dwordx4 v[10:13], v0, s[8:9] offset:2832
	global_load_dwordx4 v[14:17], v0, s[8:9] offset:2816
	;; [unrolled: 1-line block ×6, first 2 shown]
	v_add_u32_e32 v46, 0x1a00, v74
	v_mul_lo_u32 v56, s11, v42
	v_mul_lo_u32 v57, s10, v43
	v_mad_u64_u32 v[0:1], s[0:1], s10, v42, 0
	ds_read2st64_b64 v[42:45], v74 offset1:11
	ds_read_b64 v[50:51], v77 offset:4224
	ds_read_b64 v[52:53], v76
	ds_read_b64 v[54:55], v75
	ds_read2_b64 v[46:49], v46 offset0:48 offset1:224
	v_add3_u32 v1, v1, v57, v56
	s_mov_b32 s10, 0x37e14327
	s_mov_b32 s11, 0x3fe948f6
	;; [unrolled: 1-line block ×12, first 2 shown]
	v_lshl_add_u64 v[0:1], v[0:1], 4, s[6:7]
	v_lshl_add_u64 v[0:1], v[40:41], 4, v[0:1]
	s_waitcnt vmcnt(5) lgkmcnt(4)
	v_mul_f64 v[56:57], v[44:45], v[12:13]
	s_waitcnt vmcnt(4) lgkmcnt(3)
	v_mul_f64 v[58:59], v[50:51], v[16:17]
	;; [unrolled: 2-line block ×4, first 2 shown]
	s_waitcnt vmcnt(1)
	v_mul_f64 v[64:65], v[54:55], v[34:35]
	s_waitcnt vmcnt(0)
	v_mul_f64 v[66:67], v[48:49], v[38:39]
	v_mul_f64 v[26:27], v[20:21], v[26:27]
	;; [unrolled: 1-line block ×7, first 2 shown]
	v_fma_f64 v[4:5], v[4:5], v[10:11], -v[56:57]
	v_fma_f64 v[22:23], v[22:23], v[14:15], -v[58:59]
	;; [unrolled: 1-line block ×6, first 2 shown]
	v_fmac_f64_e32 v[26:27], v[24:25], v[52:53]
	v_fmac_f64_e32 v[30:31], v[28:29], v[46:47]
	;; [unrolled: 1-line block ×6, first 2 shown]
	v_add_f64 v[10:11], v[4:5], -v[22:23]
	v_add_f64 v[14:15], v[20:21], -v[6:7]
	;; [unrolled: 1-line block ×3, first 2 shown]
	v_add_f64 v[32:33], v[26:27], v[30:31]
	v_add_f64 v[36:37], v[34:35], v[38:39]
	v_add_f64 v[4:5], v[4:5], v[22:23]
	v_add_f64 v[20:21], v[20:21], v[6:7]
	v_add_f64 v[18:19], v[18:19], v[8:9]
	v_add_f64 v[28:29], v[12:13], v[16:17]
	v_add_f64 v[6:7], v[10:11], v[14:15]
	v_add_f64 v[46:47], v[32:33], v[36:37]
	v_add_f64 v[50:51], v[18:19], -v[4:5]
	v_add_f64 v[52:53], v[20:21], v[18:19]
	v_add_f64 v[44:45], v[36:37], -v[28:29]
	v_add_f64 v[54:55], v[6:7], v[24:25]
	v_add_f64 v[6:7], v[28:29], v[46:47]
	v_mul_f64 v[46:47], v[50:51], s[10:11]
	v_add_f64 v[50:51], v[4:5], v[52:53]
	v_add_f64 v[8:9], v[10:11], -v[14:15]
	v_add_f64 v[22:23], v[28:29], -v[32:33]
	;; [unrolled: 1-line block ×3, first 2 shown]
	v_mul_f64 v[44:45], v[44:45], s[10:11]
	v_add_f64 v[4:5], v[42:43], v[6:7]
	v_add_f64 v[2:3], v[2:3], v[50:51]
	v_mul_f64 v[56:57], v[8:9], s[4:5]
	v_mul_f64 v[58:59], v[22:23], s[8:9]
	;; [unrolled: 1-line block ×3, first 2 shown]
	v_fma_f64 v[8:9], s[8:9], v[22:23], v[44:45]
	v_fma_f64 v[22:23], s[8:9], v[48:49], v[46:47]
	v_mov_b64_e32 v[42:43], v[4:5]
	v_mov_b64_e32 v[48:49], v[2:3]
	v_fmac_f64_e32 v[42:43], s[12:13], v[6:7]
	v_fmac_f64_e32 v[48:49], s[12:13], v[50:51]
	v_add_f64 v[6:7], v[12:13], -v[16:17]
	v_add_f64 v[16:17], v[26:27], -v[30:31]
	v_add_f64 v[50:51], v[22:23], v[48:49]
	v_add_f64 v[12:13], v[6:7], v[16:17]
	v_add_f64 v[22:23], v[34:35], -v[38:39]
	v_add_f64 v[26:27], v[12:13], v[22:23]
	v_add_f64 v[12:13], v[6:7], -v[16:17]
	v_mul_f64 v[30:31], v[12:13], s[4:5]
	s_mov_b32 s4, 0x429ad128
	v_add_f64 v[10:11], v[24:25], -v[10:11]
	v_add_f64 v[34:35], v[22:23], -v[6:7]
	v_add_f64 v[14:15], v[14:15], -v[24:25]
	s_mov_b32 s5, 0x3febfeb5
	v_fma_f64 v[52:53], s[2:3], v[10:11], v[56:57]
	v_fma_f64 v[38:39], s[2:3], v[34:35], v[30:31]
	v_mul_f64 v[12:13], v[14:15], s[4:5]
	s_mov_b32 s3, 0xbfd5d0dc
	v_add_f64 v[32:33], v[32:33], -v[36:37]
	s_mov_b32 s9, 0xbfe77f67
	s_mov_b32 s8, 0x5476071b
	v_fma_f64 v[24:25], v[10:11], s[2:3], -v[12:13]
	v_fma_f64 v[10:11], v[32:33], s[8:9], -v[44:45]
	v_add_f64 v[18:19], v[20:21], -v[18:19]
	v_add_f64 v[36:37], v[10:11], v[42:43]
	v_fma_f64 v[10:11], v[18:19], s[8:9], -v[46:47]
	v_add_f64 v[20:21], v[16:17], -v[22:23]
	v_add_f64 v[44:45], v[10:11], v[48:49]
	v_mul_f64 v[10:11], v[20:21], s[4:5]
	s_mov_b32 s9, 0x3fe77f67
	v_fma_f64 v[22:23], v[34:35], s[2:3], -v[10:11]
	v_fma_f64 v[34:35], v[14:15], s[4:5], -v[56:57]
	;; [unrolled: 1-line block ×5, first 2 shown]
	v_fmac_f64_e32 v[30:31], s[0:1], v[26:27]
	v_add_f64 v[18:19], v[14:15], v[48:49]
	v_fmac_f64_e32 v[52:53], s[0:1], v[54:55]
	v_fmac_f64_e32 v[38:39], s[0:1], v[26:27]
	;; [unrolled: 1-line block ×4, first 2 shown]
	v_add_f64 v[32:33], v[16:17], v[42:43]
	v_fmac_f64_e32 v[34:35], s[0:1], v[54:55]
	v_add_f64 v[14:15], v[30:31], v[18:19]
	v_add_f64 v[18:19], v[18:19], -v[30:31]
	v_mad_u64_u32 v[30:31], s[0:1], s16, v72, 0
	v_add_f64 v[16:17], v[32:33], -v[34:35]
	v_add_f64 v[20:21], v[34:35], v[32:33]
	v_mov_b32_e32 v32, v31
	v_mad_u64_u32 v[32:33], s[0:1], s17, v72, v[32:33]
	v_mov_b32_e32 v31, v32
	v_lshl_add_u64 v[30:31], v[30:31], 4, v[0:1]
	global_store_dwordx4 v[30:31], v[2:5], off
	v_add_f64 v[60:61], v[8:9], v[42:43]
	v_add_f64 v[28:29], v[60:61], -v[52:53]
	v_add_u32_e32 v5, 0xb0, v72
	v_mad_u64_u32 v[2:3], s[0:1], s16, v5, 0
	v_mov_b32_e32 v4, v3
	v_mad_u64_u32 v[4:5], s[0:1], s17, v5, v[4:5]
	v_mov_b32_e32 v3, v4
	v_add_f64 v[26:27], v[38:39], v[50:51]
	v_lshl_add_u64 v[2:3], v[2:3], 4, v[0:1]
	v_add_u32_e32 v5, 0x160, v72
	global_store_dwordx4 v[2:3], v[26:29], off
	v_mad_u64_u32 v[2:3], s[0:1], s16, v5, 0
	v_mov_b32_e32 v4, v3
	v_mad_u64_u32 v[4:5], s[0:1], s17, v5, v[4:5]
	v_mov_b32_e32 v3, v4
	v_add_f64 v[12:13], v[24:25], v[36:37]
	v_add_f64 v[10:11], v[44:45], -v[22:23]
	v_add_f64 v[24:25], v[36:37], -v[24:25]
	v_add_f64 v[22:23], v[22:23], v[44:45]
	v_lshl_add_u64 v[2:3], v[2:3], 4, v[0:1]
	v_add_u32_e32 v5, 0x210, v72
	global_store_dwordx4 v[2:3], v[22:25], off
	v_mad_u64_u32 v[2:3], s[0:1], s16, v5, 0
	v_mov_b32_e32 v4, v3
	v_mad_u64_u32 v[4:5], s[0:1], s17, v5, v[4:5]
	v_mov_b32_e32 v3, v4
	v_lshl_add_u64 v[2:3], v[2:3], 4, v[0:1]
	v_add_u32_e32 v5, 0x2c0, v72
	global_store_dwordx4 v[2:3], v[18:21], off
	v_mad_u64_u32 v[2:3], s[0:1], s16, v5, 0
	v_mov_b32_e32 v4, v3
	v_mad_u64_u32 v[4:5], s[0:1], s17, v5, v[4:5]
	v_mov_b32_e32 v3, v4
	;; [unrolled: 7-line block ×4, first 2 shown]
	v_add_f64 v[8:9], v[52:53], v[60:61]
	v_add_f64 v[6:7], v[50:51], -v[38:39]
	v_lshl_add_u64 v[0:1], v[2:3], 4, v[0:1]
	global_store_dwordx4 v[0:1], v[6:9], off
.LBB0_53:
	s_endpgm
	.section	.rodata,"a",@progbits
	.p2align	6, 0x0
	.amdhsa_kernel fft_rtc_fwd_len1232_factors_2_2_2_2_11_7_wgs_176_tpt_176_halfLds_dp_op_CI_CI_sbrr_dirReg
		.amdhsa_group_segment_fixed_size 0
		.amdhsa_private_segment_fixed_size 0
		.amdhsa_kernarg_size 104
		.amdhsa_user_sgpr_count 2
		.amdhsa_user_sgpr_dispatch_ptr 0
		.amdhsa_user_sgpr_queue_ptr 0
		.amdhsa_user_sgpr_kernarg_segment_ptr 1
		.amdhsa_user_sgpr_dispatch_id 0
		.amdhsa_user_sgpr_kernarg_preload_length 0
		.amdhsa_user_sgpr_kernarg_preload_offset 0
		.amdhsa_user_sgpr_private_segment_size 0
		.amdhsa_uses_dynamic_stack 0
		.amdhsa_enable_private_segment 0
		.amdhsa_system_sgpr_workgroup_id_x 1
		.amdhsa_system_sgpr_workgroup_id_y 0
		.amdhsa_system_sgpr_workgroup_id_z 0
		.amdhsa_system_sgpr_workgroup_info 0
		.amdhsa_system_vgpr_workitem_id 0
		.amdhsa_next_free_vgpr 118
		.amdhsa_next_free_sgpr 40
		.amdhsa_accum_offset 120
		.amdhsa_reserve_vcc 1
		.amdhsa_float_round_mode_32 0
		.amdhsa_float_round_mode_16_64 0
		.amdhsa_float_denorm_mode_32 3
		.amdhsa_float_denorm_mode_16_64 3
		.amdhsa_dx10_clamp 1
		.amdhsa_ieee_mode 1
		.amdhsa_fp16_overflow 0
		.amdhsa_tg_split 0
		.amdhsa_exception_fp_ieee_invalid_op 0
		.amdhsa_exception_fp_denorm_src 0
		.amdhsa_exception_fp_ieee_div_zero 0
		.amdhsa_exception_fp_ieee_overflow 0
		.amdhsa_exception_fp_ieee_underflow 0
		.amdhsa_exception_fp_ieee_inexact 0
		.amdhsa_exception_int_div_zero 0
	.end_amdhsa_kernel
	.text
.Lfunc_end0:
	.size	fft_rtc_fwd_len1232_factors_2_2_2_2_11_7_wgs_176_tpt_176_halfLds_dp_op_CI_CI_sbrr_dirReg, .Lfunc_end0-fft_rtc_fwd_len1232_factors_2_2_2_2_11_7_wgs_176_tpt_176_halfLds_dp_op_CI_CI_sbrr_dirReg
                                        ; -- End function
	.section	.AMDGPU.csdata,"",@progbits
; Kernel info:
; codeLenInByte = 9092
; NumSgprs: 46
; NumVgprs: 118
; NumAgprs: 0
; TotalNumVgprs: 118
; ScratchSize: 0
; MemoryBound: 1
; FloatMode: 240
; IeeeMode: 1
; LDSByteSize: 0 bytes/workgroup (compile time only)
; SGPRBlocks: 5
; VGPRBlocks: 14
; NumSGPRsForWavesPerEU: 46
; NumVGPRsForWavesPerEU: 118
; AccumOffset: 120
; Occupancy: 4
; WaveLimiterHint : 1
; COMPUTE_PGM_RSRC2:SCRATCH_EN: 0
; COMPUTE_PGM_RSRC2:USER_SGPR: 2
; COMPUTE_PGM_RSRC2:TRAP_HANDLER: 0
; COMPUTE_PGM_RSRC2:TGID_X_EN: 1
; COMPUTE_PGM_RSRC2:TGID_Y_EN: 0
; COMPUTE_PGM_RSRC2:TGID_Z_EN: 0
; COMPUTE_PGM_RSRC2:TIDIG_COMP_CNT: 0
; COMPUTE_PGM_RSRC3_GFX90A:ACCUM_OFFSET: 29
; COMPUTE_PGM_RSRC3_GFX90A:TG_SPLIT: 0
	.text
	.p2alignl 6, 3212836864
	.fill 256, 4, 3212836864
	.type	__hip_cuid_e0aa5fab95dda595,@object ; @__hip_cuid_e0aa5fab95dda595
	.section	.bss,"aw",@nobits
	.globl	__hip_cuid_e0aa5fab95dda595
__hip_cuid_e0aa5fab95dda595:
	.byte	0                               ; 0x0
	.size	__hip_cuid_e0aa5fab95dda595, 1

	.ident	"AMD clang version 19.0.0git (https://github.com/RadeonOpenCompute/llvm-project roc-6.4.0 25133 c7fe45cf4b819c5991fe208aaa96edf142730f1d)"
	.section	".note.GNU-stack","",@progbits
	.addrsig
	.addrsig_sym __hip_cuid_e0aa5fab95dda595
	.amdgpu_metadata
---
amdhsa.kernels:
  - .agpr_count:     0
    .args:
      - .actual_access:  read_only
        .address_space:  global
        .offset:         0
        .size:           8
        .value_kind:     global_buffer
      - .offset:         8
        .size:           8
        .value_kind:     by_value
      - .actual_access:  read_only
        .address_space:  global
        .offset:         16
        .size:           8
        .value_kind:     global_buffer
      - .actual_access:  read_only
        .address_space:  global
        .offset:         24
        .size:           8
        .value_kind:     global_buffer
      - .actual_access:  read_only
        .address_space:  global
        .offset:         32
        .size:           8
        .value_kind:     global_buffer
      - .offset:         40
        .size:           8
        .value_kind:     by_value
      - .actual_access:  read_only
        .address_space:  global
        .offset:         48
        .size:           8
        .value_kind:     global_buffer
      - .actual_access:  read_only
        .address_space:  global
        .offset:         56
        .size:           8
        .value_kind:     global_buffer
      - .offset:         64
        .size:           4
        .value_kind:     by_value
      - .actual_access:  read_only
        .address_space:  global
        .offset:         72
        .size:           8
        .value_kind:     global_buffer
      - .actual_access:  read_only
        .address_space:  global
        .offset:         80
        .size:           8
        .value_kind:     global_buffer
      - .actual_access:  read_only
        .address_space:  global
        .offset:         88
        .size:           8
        .value_kind:     global_buffer
      - .actual_access:  write_only
        .address_space:  global
        .offset:         96
        .size:           8
        .value_kind:     global_buffer
    .group_segment_fixed_size: 0
    .kernarg_segment_align: 8
    .kernarg_segment_size: 104
    .language:       OpenCL C
    .language_version:
      - 2
      - 0
    .max_flat_workgroup_size: 176
    .name:           fft_rtc_fwd_len1232_factors_2_2_2_2_11_7_wgs_176_tpt_176_halfLds_dp_op_CI_CI_sbrr_dirReg
    .private_segment_fixed_size: 0
    .sgpr_count:     46
    .sgpr_spill_count: 0
    .symbol:         fft_rtc_fwd_len1232_factors_2_2_2_2_11_7_wgs_176_tpt_176_halfLds_dp_op_CI_CI_sbrr_dirReg.kd
    .uniform_work_group_size: 1
    .uses_dynamic_stack: false
    .vgpr_count:     118
    .vgpr_spill_count: 0
    .wavefront_size: 64
amdhsa.target:   amdgcn-amd-amdhsa--gfx950
amdhsa.version:
  - 1
  - 2
...

	.end_amdgpu_metadata
